;; amdgpu-corpus repo=zjin-lcf/HeCBench kind=compiled arch=gfx906 opt=O3
	.amdgcn_target "amdgcn-amd-amdhsa--gfx906"
	.amdhsa_code_object_version 6
	.text
	.protected	_Z9laplace3diiiiPKfPf   ; -- Begin function _Z9laplace3diiiiPKfPf
	.globl	_Z9laplace3diiiiPKfPf
	.p2align	8
	.type	_Z9laplace3diiiiPKfPf,@function
_Z9laplace3diiiiPKfPf:                  ; @_Z9laplace3diiiiPKfPf
; %bb.0:
	s_load_dwordx4 s[12:15], s[4:5], 0x0
	v_lshl_add_u32 v4, v1, 5, v0
	s_movk_i32 s0, 0x54
	v_cmp_gt_u32_e32 vcc, s0, v4
                                        ; implicit-def: $sgpr0_sgpr1
                                        ; implicit-def: $vgpr2
                                        ; implicit-def: $vgpr5
                                        ; implicit-def: $vgpr6
                                        ; implicit-def: $vgpr3
	s_and_saveexec_b64 s[2:3], vcc
	s_xor_b64 s[10:11], exec, s[2:3]
	s_cbranch_execz .LBB0_6
; %bb.1:
	v_cmp_lt_u32_e32 vcc, 1, v1
                                        ; implicit-def: $vgpr3
                                        ; implicit-def: $vgpr2
	s_and_saveexec_b64 s[0:1], vcc
	s_xor_b64 s[0:1], exec, s[0:1]
; %bb.2:
	v_and_b32_e32 v2, 1, v0
	v_cmp_eq_u32_e32 vcc, 1, v2
	v_lshrrev_b32_e32 v2, 1, v4
	v_cndmask_b32_e64 v3, -1, 32, vcc
	v_subrev_u32_e32 v2, 33, v2
; %bb.3:
	s_andn2_saveexec_b64 s[0:1], s[0:1]
; %bb.4:
	v_mad_u32_u24 v2, v1, 9, -1
	v_mov_b32_e32 v3, v0
; %bb.5:
	s_or_b64 exec, exec, s[0:1]
	v_mul_lo_u32 v5, v2, 34
	s_lshl_b32 s16, s6, 5
	s_lshl_b32 s17, s7, 3
	s_movk_i32 s0, 0x177
	v_add_u32_e32 v6, s16, v3
	v_add_u32_e32 v7, s17, v2
	v_add3_u32 v5, v5, v3, s0
	s_waitcnt lgkmcnt(0)
	v_mad_u64_u32 v[2:3], s[0:1], v7, s15, v[6:7]
	v_cmp_gt_i32_e32 vcc, 0, v6
	v_cmp_le_i32_e64 s[0:1], s12, v6
	v_cmp_gt_i32_e64 s[2:3], 0, v7
	v_cmp_le_i32_e64 s[8:9], s13, v7
	s_or_b64 s[2:3], s[2:3], s[8:9]
	s_or_b64 s[0:1], vcc, s[0:1]
	s_or_b64 s[0:1], s[0:1], s[2:3]
	v_mov_b32_e32 v3, s17
	v_mov_b32_e32 v6, s16
.LBB0_6:
	s_or_saveexec_b64 s[2:3], s[10:11]
	s_load_dwordx2 s[8:9], s[4:5], 0x10
	s_xor_b64 exec, exec, s[2:3]
; %bb.7:
	s_lshl_b32 s6, s6, 5
	s_lshl_b32 s7, s7, 3
	v_mov_b32_e32 v5, 0
	v_mov_b32_e32 v3, s7
	;; [unrolled: 1-line block ×3, first 2 shown]
	s_or_b64 s[0:1], s[0:1], exec
                                        ; implicit-def: $vgpr2
; %bb.8:
	s_or_b64 exec, exec, s[2:3]
	v_add_u32_e32 v6, v6, v0
	v_add_u32_e32 v9, v3, v1
	s_xor_b64 s[6:7], s[0:1], -1
	v_lshl_add_u32 v4, v1, 1, v4
	s_waitcnt lgkmcnt(0)
	v_mad_u64_u32 v[0:1], s[0:1], s15, v9, v[6:7]
	v_cmp_gt_i32_e32 vcc, s12, v6
	v_cmp_gt_i32_e64 s[0:1], s13, v9
	s_and_b64 s[10:11], vcc, s[0:1]
	v_lshlrev_b32_e32 v7, 2, v4
	s_and_saveexec_b64 s[0:1], s[10:11]
	s_cbranch_execnz .LBB0_11
; %bb.9:
	s_or_b64 exec, exec, s[0:1]
	v_lshlrev_b32_e32 v1, 2, v5
	s_and_saveexec_b64 s[0:1], s[6:7]
	s_cbranch_execnz .LBB0_12
.LBB0_10:
	s_or_b64 exec, exec, s[0:1]
	s_cmp_lt_i32 s14, 1
	s_cbranch_scc0 .LBB0_13
	s_branch .LBB0_39
.LBB0_11:
	v_ashrrev_i32_e32 v1, 31, v0
	v_lshlrev_b64 v[3:4], 2, v[0:1]
	v_mov_b32_e32 v1, s9
	v_add_co_u32_e32 v3, vcc, s8, v3
	v_addc_co_u32_e32 v4, vcc, v1, v4, vcc
	global_load_dword v1, v[3:4], off
	s_waitcnt vmcnt(0)
	ds_write_b32 v7, v1 offset:2860
	s_or_b64 exec, exec, s[0:1]
	v_lshlrev_b32_e32 v1, 2, v5
	s_and_saveexec_b64 s[0:1], s[6:7]
	s_cbranch_execz .LBB0_10
.LBB0_12:
	v_ashrrev_i32_e32 v3, 31, v2
	v_lshlrev_b64 v[3:4], 2, v[2:3]
	v_mov_b32_e32 v5, s9
	v_add_co_u32_e32 v3, vcc, s8, v3
	v_addc_co_u32_e32 v4, vcc, v5, v4, vcc
	global_load_dword v3, v[3:4], off
	s_waitcnt vmcnt(0)
	ds_write_b32 v1, v3 offset:1360
	s_or_b64 exec, exec, s[0:1]
	s_cmp_lt_i32 s14, 1
	s_cbranch_scc1 .LBB0_39
.LBB0_13:
	s_mul_i32 s15, s15, s13
                                        ; implicit-def: $vgpr4
	s_and_saveexec_b64 s[0:1], s[10:11]
	s_cbranch_execz .LBB0_18
; %bb.14:
	ds_read_b32 v4, v7 offset:1500
	ds_read_b32 v5, v7 offset:2860
	v_add_u32_e32 v3, s15, v0
	s_cmp_eq_u32 s14, 1
	s_waitcnt lgkmcnt(1)
	ds_write_b32 v7, v4 offset:140
	s_waitcnt lgkmcnt(1)
	ds_write_b32 v7, v5 offset:1500
	s_cbranch_scc1 .LBB0_16
; %bb.15:
	v_ashrrev_i32_e32 v4, 31, v3
	v_lshlrev_b64 v[4:5], 2, v[3:4]
	v_mov_b32_e32 v8, s9
	v_add_co_u32_e32 v4, vcc, s8, v4
	v_addc_co_u32_e32 v5, vcc, v8, v5, vcc
	global_load_dword v5, v[4:5], off
	v_mov_b32_e32 v4, v0
	s_waitcnt vmcnt(0)
	ds_write_b32 v7, v5 offset:2860
	s_branch .LBB0_17
.LBB0_16:
	v_mov_b32_e32 v4, v0
.LBB0_17:
	v_mov_b32_e32 v0, v3
.LBB0_18:
	s_or_b64 exec, exec, s[0:1]
	s_load_dwordx2 s[16:17], s[4:5], 0x18
	v_add_u32_e32 v8, 0xfffffab0, v1
	s_and_saveexec_b64 s[0:1], s[6:7]
	s_cbranch_execz .LBB0_21
; %bb.19:
	ds_read_b32 v3, v1
	ds_read_b32 v5, v1 offset:1360
	v_add_u32_e32 v2, s15, v2
	s_cmp_eq_u32 s14, 1
	s_waitcnt lgkmcnt(0)
	ds_write_b32 v8, v3
	ds_write_b32 v1, v5
	s_cbranch_scc1 .LBB0_21
; %bb.20:
	v_ashrrev_i32_e32 v3, 31, v2
	v_lshlrev_b64 v[10:11], 2, v[2:3]
	v_mov_b32_e32 v3, s9
	v_add_co_u32_e32 v10, vcc, s8, v10
	v_addc_co_u32_e32 v11, vcc, v3, v11, vcc
	global_load_dword v3, v[10:11], off
	s_waitcnt vmcnt(0)
	ds_write_b32 v1, v3 offset:1360
.LBB0_21:
	s_or_b64 exec, exec, s[0:1]
	s_waitcnt lgkmcnt(0)
	s_barrier
	s_and_saveexec_b64 s[0:1], s[10:11]
	s_cbranch_execz .LBB0_23
; %bb.22:
	ds_read_b32 v3, v7 offset:1500
	v_ashrrev_i32_e32 v5, 31, v4
	v_lshlrev_b64 v[10:11], 2, v[4:5]
	v_mov_b32_e32 v5, s17
	v_add_co_u32_e32 v10, vcc, s16, v10
	v_addc_co_u32_e32 v11, vcc, v5, v11, vcc
	s_waitcnt lgkmcnt(0)
	global_store_dword v[10:11], v3, off
.LBB0_23:
	s_or_b64 exec, exec, s[0:1]
	s_cmp_eq_u32 s14, 1
	s_waitcnt vmcnt(0)
	s_barrier
	s_cbranch_scc1 .LBB0_39
; %bb.24:
	s_add_i32 s0, s12, -1
	v_cmp_eq_u32_e32 vcc, 0, v6
	v_cmp_eq_u32_e64 s[0:1], s0, v6
	s_add_i32 s4, s13, -1
	v_cmp_eq_u32_e64 s[2:3], 0, v9
	s_or_b64 s[0:1], vcc, s[0:1]
	v_cmp_eq_u32_e64 s[4:5], s4, v9
	s_or_b64 s[0:1], s[0:1], s[2:3]
	s_or_b64 s[0:1], s[0:1], s[4:5]
	s_mov_b32 s18, 0
	s_add_i32 s12, s14, -1
	s_add_i32 s13, s14, -2
	s_xor_b64 s[0:1], s[0:1], -1
	v_add_u32_e32 v6, 0x400, v7
	s_branch .LBB0_27
.LBB0_25:                               ;   in Loop: Header=BB0_27 Depth=1
	s_or_b64 exec, exec, s[4:5]
	v_ashrrev_i32_e32 v5, 31, v4
	v_lshlrev_b64 v[9:10], 2, v[4:5]
	v_mov_b32_e32 v5, s17
	v_add_co_u32_e32 v9, vcc, s16, v9
	v_addc_co_u32_e32 v10, vcc, v5, v10, vcc
	s_waitcnt lgkmcnt(0)
	global_store_dword v[9:10], v3, off
.LBB0_26:                               ;   in Loop: Header=BB0_27 Depth=1
	s_or_b64 exec, exec, s[2:3]
	s_cmp_lg_u32 s12, s14
	s_mov_b32 s18, s14
	s_waitcnt vmcnt(0)
	s_barrier
	s_cbranch_scc0 .LBB0_39
.LBB0_27:                               ; =>This Inner Loop Header: Depth=1
	s_add_i32 s14, s18, 1
	s_and_saveexec_b64 s[2:3], s[10:11]
	s_cbranch_execz .LBB0_31
; %bb.28:                               ;   in Loop: Header=BB0_27 Depth=1
	ds_read_b32 v4, v7 offset:1500
	ds_read_b32 v5, v7 offset:2860
	v_add_u32_e32 v3, s15, v0
	s_cmp_ge_i32 s14, s12
	s_waitcnt lgkmcnt(1)
	ds_write_b32 v7, v4 offset:140
	s_waitcnt lgkmcnt(1)
	ds_write_b32 v7, v5 offset:1500
	s_cbranch_scc1 .LBB0_30
; %bb.29:                               ;   in Loop: Header=BB0_27 Depth=1
	v_ashrrev_i32_e32 v4, 31, v3
	v_lshlrev_b64 v[4:5], 2, v[3:4]
	v_mov_b32_e32 v9, s9
	v_add_co_u32_e32 v4, vcc, s8, v4
	v_addc_co_u32_e32 v5, vcc, v9, v5, vcc
	global_load_dword v4, v[4:5], off
	s_waitcnt vmcnt(0)
	ds_write_b32 v7, v4 offset:2860
.LBB0_30:                               ;   in Loop: Header=BB0_27 Depth=1
	v_mov_b32_e32 v4, v0
	v_mov_b32_e32 v0, v3
.LBB0_31:                               ;   in Loop: Header=BB0_27 Depth=1
	s_or_b64 exec, exec, s[2:3]
	s_and_saveexec_b64 s[2:3], s[6:7]
	s_cbranch_execz .LBB0_34
; %bb.32:                               ;   in Loop: Header=BB0_27 Depth=1
	ds_read_b32 v3, v1
	ds_read_b32 v5, v1 offset:1360
	v_add_u32_e32 v2, s15, v2
	s_cmp_ge_i32 s14, s12
	s_waitcnt lgkmcnt(1)
	ds_write_b32 v8, v3
	s_waitcnt lgkmcnt(1)
	ds_write_b32 v1, v5
	s_cbranch_scc1 .LBB0_34
; %bb.33:                               ;   in Loop: Header=BB0_27 Depth=1
	v_ashrrev_i32_e32 v3, 31, v2
	v_lshlrev_b64 v[9:10], 2, v[2:3]
	v_mov_b32_e32 v3, s9
	v_add_co_u32_e32 v9, vcc, s8, v9
	v_addc_co_u32_e32 v10, vcc, v3, v10, vcc
	global_load_dword v3, v[9:10], off
	s_waitcnt vmcnt(0)
	ds_write_b32 v1, v3 offset:1360
.LBB0_34:                               ;   in Loop: Header=BB0_27 Depth=1
	s_or_b64 exec, exec, s[2:3]
	s_waitcnt lgkmcnt(0)
	s_barrier
	s_and_saveexec_b64 s[2:3], s[10:11]
	s_cbranch_execz .LBB0_26
; %bb.35:                               ;   in Loop: Header=BB0_27 Depth=1
	s_cmp_lg_u32 s13, s18
	s_cselect_b64 s[4:5], -1, 0
	s_and_b64 s[4:5], s[0:1], s[4:5]
                                        ; implicit-def: $vgpr3
	s_and_saveexec_b64 s[18:19], s[4:5]
	s_xor_b64 s[4:5], exec, s[18:19]
	s_cbranch_execz .LBB0_37
; %bb.36:                               ;   in Loop: Header=BB0_27 Depth=1
	ds_read2_b32 v[9:10], v6 offset0:85 offset1:118
	ds_read2_b32 v[11:12], v6 offset0:120 offset1:153
	ds_read_b32 v3, v7 offset:140
	ds_read_b32 v5, v7 offset:2860
	s_waitcnt lgkmcnt(2)
	v_add_f32_e32 v10, v10, v11
	v_add_f32_e32 v9, v10, v9
	;; [unrolled: 1-line block ×3, first 2 shown]
	s_waitcnt lgkmcnt(1)
	v_add_f32_e32 v3, v9, v3
	s_waitcnt lgkmcnt(0)
	v_add_f32_e32 v3, v3, v5
	v_mul_f32_e32 v3, 0x3e2aaaab, v3
.LBB0_37:                               ;   in Loop: Header=BB0_27 Depth=1
	s_andn2_saveexec_b64 s[4:5], s[4:5]
	s_cbranch_execz .LBB0_25
; %bb.38:                               ;   in Loop: Header=BB0_27 Depth=1
	ds_read_b32 v3, v7 offset:1500
	s_branch .LBB0_25
.LBB0_39:
	s_endpgm
	.section	.rodata,"a",@progbits
	.p2align	6, 0x0
	.amdhsa_kernel _Z9laplace3diiiiPKfPf
		.amdhsa_group_segment_fixed_size 4080
		.amdhsa_private_segment_fixed_size 0
		.amdhsa_kernarg_size 32
		.amdhsa_user_sgpr_count 6
		.amdhsa_user_sgpr_private_segment_buffer 1
		.amdhsa_user_sgpr_dispatch_ptr 0
		.amdhsa_user_sgpr_queue_ptr 0
		.amdhsa_user_sgpr_kernarg_segment_ptr 1
		.amdhsa_user_sgpr_dispatch_id 0
		.amdhsa_user_sgpr_flat_scratch_init 0
		.amdhsa_user_sgpr_private_segment_size 0
		.amdhsa_uses_dynamic_stack 0
		.amdhsa_system_sgpr_private_segment_wavefront_offset 0
		.amdhsa_system_sgpr_workgroup_id_x 1
		.amdhsa_system_sgpr_workgroup_id_y 1
		.amdhsa_system_sgpr_workgroup_id_z 0
		.amdhsa_system_sgpr_workgroup_info 0
		.amdhsa_system_vgpr_workitem_id 1
		.amdhsa_next_free_vgpr 29
		.amdhsa_next_free_sgpr 61
		.amdhsa_reserve_vcc 1
		.amdhsa_reserve_flat_scratch 0
		.amdhsa_float_round_mode_32 0
		.amdhsa_float_round_mode_16_64 0
		.amdhsa_float_denorm_mode_32 3
		.amdhsa_float_denorm_mode_16_64 3
		.amdhsa_dx10_clamp 1
		.amdhsa_ieee_mode 1
		.amdhsa_fp16_overflow 0
		.amdhsa_exception_fp_ieee_invalid_op 0
		.amdhsa_exception_fp_denorm_src 0
		.amdhsa_exception_fp_ieee_div_zero 0
		.amdhsa_exception_fp_ieee_overflow 0
		.amdhsa_exception_fp_ieee_underflow 0
		.amdhsa_exception_fp_ieee_inexact 0
		.amdhsa_exception_int_div_zero 0
	.end_amdhsa_kernel
	.text
.Lfunc_end0:
	.size	_Z9laplace3diiiiPKfPf, .Lfunc_end0-_Z9laplace3diiiiPKfPf
                                        ; -- End function
	.set _Z9laplace3diiiiPKfPf.num_vgpr, 13
	.set _Z9laplace3diiiiPKfPf.num_agpr, 0
	.set _Z9laplace3diiiiPKfPf.numbered_sgpr, 20
	.set _Z9laplace3diiiiPKfPf.num_named_barrier, 0
	.set _Z9laplace3diiiiPKfPf.private_seg_size, 0
	.set _Z9laplace3diiiiPKfPf.uses_vcc, 1
	.set _Z9laplace3diiiiPKfPf.uses_flat_scratch, 0
	.set _Z9laplace3diiiiPKfPf.has_dyn_sized_stack, 0
	.set _Z9laplace3diiiiPKfPf.has_recursion, 0
	.set _Z9laplace3diiiiPKfPf.has_indirect_call, 0
	.section	.AMDGPU.csdata,"",@progbits
; Kernel info:
; codeLenInByte = 1272
; TotalNumSgprs: 24
; NumVgprs: 13
; ScratchSize: 0
; MemoryBound: 0
; FloatMode: 240
; IeeeMode: 1
; LDSByteSize: 4080 bytes/workgroup (compile time only)
; SGPRBlocks: 8
; VGPRBlocks: 7
; NumSGPRsForWavesPerEU: 65
; NumVGPRsForWavesPerEU: 29
; Occupancy: 8
; WaveLimiterHint : 0
; COMPUTE_PGM_RSRC2:SCRATCH_EN: 0
; COMPUTE_PGM_RSRC2:USER_SGPR: 6
; COMPUTE_PGM_RSRC2:TRAP_HANDLER: 0
; COMPUTE_PGM_RSRC2:TGID_X_EN: 1
; COMPUTE_PGM_RSRC2:TGID_Y_EN: 1
; COMPUTE_PGM_RSRC2:TGID_Z_EN: 0
; COMPUTE_PGM_RSRC2:TIDIG_COMP_CNT: 1
	.section	.AMDGPU.gpr_maximums,"",@progbits
	.set amdgpu.max_num_vgpr, 0
	.set amdgpu.max_num_agpr, 0
	.set amdgpu.max_num_sgpr, 0
	.section	.AMDGPU.csdata,"",@progbits
	.type	__hip_cuid_75b09ba66dc0a442,@object ; @__hip_cuid_75b09ba66dc0a442
	.section	.bss,"aw",@nobits
	.globl	__hip_cuid_75b09ba66dc0a442
__hip_cuid_75b09ba66dc0a442:
	.byte	0                               ; 0x0
	.size	__hip_cuid_75b09ba66dc0a442, 1

	.ident	"AMD clang version 22.0.0git (https://github.com/RadeonOpenCompute/llvm-project roc-7.2.4 26084 f58b06dce1f9c15707c5f808fd002e18c2accf7e)"
	.section	".note.GNU-stack","",@progbits
	.addrsig
	.addrsig_sym __hip_cuid_75b09ba66dc0a442
	.amdgpu_metadata
---
amdhsa.kernels:
  - .args:
      - .offset:         0
        .size:           4
        .value_kind:     by_value
      - .offset:         4
        .size:           4
        .value_kind:     by_value
      - .offset:         8
        .size:           4
        .value_kind:     by_value
      - .offset:         12
        .size:           4
        .value_kind:     by_value
      - .actual_access:  read_only
        .address_space:  global
        .offset:         16
        .size:           8
        .value_kind:     global_buffer
      - .actual_access:  write_only
        .address_space:  global
        .offset:         24
        .size:           8
        .value_kind:     global_buffer
    .group_segment_fixed_size: 4080
    .kernarg_segment_align: 8
    .kernarg_segment_size: 32
    .language:       OpenCL C
    .language_version:
      - 2
      - 0
    .max_flat_workgroup_size: 1024
    .name:           _Z9laplace3diiiiPKfPf
    .private_segment_fixed_size: 0
    .sgpr_count:     24
    .sgpr_spill_count: 0
    .symbol:         _Z9laplace3diiiiPKfPf.kd
    .uniform_work_group_size: 1
    .uses_dynamic_stack: false
    .vgpr_count:     13
    .vgpr_spill_count: 0
    .wavefront_size: 64
amdhsa.target:   amdgcn-amd-amdhsa--gfx906
amdhsa.version:
  - 1
  - 2
...

	.end_amdgpu_metadata
